;; amdgpu-corpus repo=ROCm/rocFFT kind=compiled arch=gfx950 opt=O3
	.text
	.amdgcn_target "amdgcn-amd-amdhsa--gfx950"
	.amdhsa_code_object_version 6
	.protected	bluestein_single_back_len256_dim1_sp_op_CI_CI ; -- Begin function bluestein_single_back_len256_dim1_sp_op_CI_CI
	.globl	bluestein_single_back_len256_dim1_sp_op_CI_CI
	.p2align	8
	.type	bluestein_single_back_len256_dim1_sp_op_CI_CI,@function
bluestein_single_back_len256_dim1_sp_op_CI_CI: ; @bluestein_single_back_len256_dim1_sp_op_CI_CI
; %bb.0:
	s_load_dwordx4 s[12:15], s[0:1], 0x28
	s_mov_b32 s3, 0
	s_waitcnt lgkmcnt(0)
	v_mov_b32_e32 v2, s12
	v_mov_b32_e32 v3, s13
	v_cmp_lt_u64_e32 vcc, s[2:3], v[2:3]
	s_and_saveexec_b64 s[4:5], vcc
	s_cbranch_execz .LBB0_2
; %bb.1:
	s_load_dwordx4 s[4:7], s[0:1], 0x18
	s_load_dwordx4 s[8:11], s[0:1], 0x0
	v_mov_b64_e32 v[22:23], s[2:3]
	v_mov_b32_e32 v2, s14
	v_mov_b32_e32 v3, s15
	s_waitcnt lgkmcnt(0)
	s_load_dwordx4 s[16:19], s[4:5], 0x0
	s_add_u32 s2, s8, 0x800
	v_lshlrev_b32_e32 v1, 3, v0
	s_addc_u32 s3, s9, 0
	global_load_dwordx2 v[14:15], v1, s[8:9]
	s_waitcnt lgkmcnt(0)
	v_mad_u64_u32 v[4:5], s[4:5], s18, v22, 0
	v_mov_b32_e32 v6, v5
	v_mad_u64_u32 v[6:7], s[4:5], s19, v22, v[6:7]
	v_mov_b32_e32 v5, v6
	v_mad_u64_u32 v[6:7], s[4:5], s16, v0, 0
	v_mov_b32_e32 v8, v7
	v_mad_u64_u32 v[8:9], s[4:5], s17, v0, v[8:9]
	v_mov_b32_e32 v7, v8
	v_lshl_add_u64 v[2:3], v[4:5], 3, v[2:3]
	v_lshl_add_u64 v[2:3], v[6:7], 3, v[2:3]
	global_load_dwordx2 v[4:5], v[2:3], off
	s_lshl_b64 s[4:5], s[16:17], 9
	v_lshl_add_u64 v[2:3], v[2:3], 0, s[4:5]
	global_load_dwordx2 v[16:17], v1, s[8:9] offset:512
	global_load_dwordx2 v[6:7], v[2:3], off
	v_lshl_add_u64 v[2:3], v[2:3], 0, s[4:5]
	global_load_dwordx2 v[8:9], v[2:3], off
	global_load_dwordx2 v[18:19], v1, s[8:9] offset:1024
	v_lshl_add_u64 v[2:3], v[2:3], 0, s[4:5]
	global_load_dwordx2 v[20:21], v1, s[8:9] offset:1536
	global_load_dwordx2 v[10:11], v[2:3], off
	s_load_dwordx4 s[4:7], s[6:7], 0x0
	v_and_b32_e32 v26, 3, v0
	v_lshlrev_b32_e32 v23, 5, v0
	v_lshlrev_b32_e32 v29, 2, v0
	v_and_b32_e32 v38, 15, v0
	s_waitcnt vmcnt(6)
	v_mul_f32_e32 v2, v5, v15
	v_mul_f32_e32 v3, v4, v15
	v_fmac_f32_e32 v2, v4, v14
	v_fma_f32 v3, v5, v14, -v3
	s_waitcnt vmcnt(4)
	v_mul_f32_e32 v4, v7, v17
	v_mul_f32_e32 v5, v6, v17
	v_fmac_f32_e32 v4, v6, v16
	v_fma_f32 v5, v7, v16, -v5
	s_waitcnt vmcnt(2)
	v_mul_f32_e32 v6, v9, v19
	v_mul_f32_e32 v7, v8, v19
	ds_write2st64_b64 v1, v[2:3], v[4:5] offset1:1
	s_waitcnt vmcnt(0)
	v_mul_f32_e32 v2, v11, v21
	v_mul_f32_e32 v3, v10, v21
	v_fmac_f32_e32 v6, v8, v18
	v_fma_f32 v7, v9, v18, -v7
	v_fmac_f32_e32 v2, v10, v20
	v_fma_f32 v3, v11, v20, -v3
	ds_write2st64_b64 v1, v[6:7], v[2:3] offset0:2 offset1:3
	s_waitcnt lgkmcnt(0)
	; wave barrier
	s_waitcnt lgkmcnt(0)
	ds_read2st64_b64 v[2:5], v1 offset1:1
	ds_read2st64_b64 v[6:9], v1 offset0:2 offset1:3
	v_mad_u64_u32 v[10:11], s[12:13], v26, 24, s[10:11]
	s_waitcnt lgkmcnt(0)
	; wave barrier
	s_waitcnt lgkmcnt(0)
	v_pk_add_f32 v[12:13], v[2:3], v[6:7] neg_lo:[0,1] neg_hi:[0,1]
	v_pk_add_f32 v[6:7], v[4:5], v[8:9] neg_lo:[0,1] neg_hi:[0,1]
	v_pk_fma_f32 v[8:9], v[2:3], 2.0, v[12:13] op_sel_hi:[1,0,1] neg_lo:[0,0,1] neg_hi:[0,0,1]
	v_pk_fma_f32 v[2:3], v[4:5], 2.0, v[6:7] op_sel_hi:[1,0,1] neg_lo:[0,0,1] neg_hi:[0,0,1]
	v_pk_add_f32 v[4:5], v[12:13], v[6:7] op_sel:[0,1] op_sel_hi:[1,0] neg_lo:[0,1] neg_hi:[0,1]
	v_pk_add_f32 v[24:25], v[12:13], v[6:7] op_sel:[0,1] op_sel_hi:[1,0]
	v_pk_add_f32 v[2:3], v[8:9], v[2:3] neg_lo:[0,1] neg_hi:[0,1]
	v_mov_b32_e32 v5, v25
	v_pk_fma_f32 v[6:7], v[8:9], 2.0, v[2:3] op_sel_hi:[1,0,1] neg_lo:[0,0,1] neg_hi:[0,0,1]
	v_pk_fma_f32 v[8:9], v[12:13], 2.0, v[4:5] op_sel_hi:[1,0,1] neg_lo:[0,0,1] neg_hi:[0,0,1]
	ds_write_b128 v23, v[6:9]
	ds_write_b128 v23, v[2:5] offset:16
	s_waitcnt lgkmcnt(0)
	; wave barrier
	s_waitcnt lgkmcnt(0)
	global_load_dwordx4 v[2:5], v[10:11], off
	global_load_dwordx2 v[24:25], v[10:11], off offset:16
	s_movk_i32 s12, 0xf0
	v_and_or_b32 v6, v29, s12, v26
	v_lshlrev_b32_e32 v58, 3, v6
	ds_read2st64_b64 v[6:9], v1 offset1:1
	ds_read2st64_b64 v[10:13], v1 offset0:2 offset1:3
	v_mad_u64_u32 v[30:31], s[12:13], v38, 24, s[10:11]
	s_waitcnt lgkmcnt(0)
	; wave barrier
	s_waitcnt lgkmcnt(0)
	s_movk_i32 s12, 0xc0
	s_waitcnt vmcnt(1)
	v_pk_mul_f32 v[26:27], v[8:9], v[2:3] op_sel:[0,1]
	v_mov_b32_e32 v28, v5
	s_waitcnt vmcnt(0)
	v_pk_mul_f32 v[32:33], v[12:13], v[24:25] op_sel:[0,1]
	v_pk_fma_f32 v[34:35], v[8:9], v[2:3], v[26:27] op_sel:[0,0,1] op_sel_hi:[1,1,0] neg_lo:[0,0,1] neg_hi:[0,0,1]
	v_pk_fma_f32 v[8:9], v[8:9], v[2:3], v[26:27] op_sel:[0,0,1] op_sel_hi:[1,0,0]
	v_pk_mul_f32 v[26:27], v[10:11], v[28:29] op_sel_hi:[1,0]
	v_pk_fma_f32 v[36:37], v[12:13], v[24:25], v[32:33] op_sel:[0,0,1] op_sel_hi:[1,1,0] neg_lo:[0,0,1] neg_hi:[0,0,1]
	v_pk_fma_f32 v[12:13], v[12:13], v[24:25], v[32:33] op_sel:[0,0,1] op_sel_hi:[1,0,0]
	v_mov_b32_e32 v35, v9
	v_pk_fma_f32 v[8:9], v[10:11], v[4:5], v[26:27] op_sel:[0,0,1] op_sel_hi:[1,1,0] neg_lo:[0,0,1] neg_hi:[0,0,1]
	v_pk_fma_f32 v[10:11], v[10:11], v[4:5], v[26:27] op_sel:[0,0,1] op_sel_hi:[1,0,0]
	v_mov_b32_e32 v37, v13
	v_mov_b32_e32 v9, v11
	v_pk_add_f32 v[10:11], v[34:35], v[36:37] neg_lo:[0,1] neg_hi:[0,1]
	v_pk_add_f32 v[8:9], v[6:7], v[8:9] neg_lo:[0,1] neg_hi:[0,1]
	v_pk_fma_f32 v[12:13], v[34:35], 2.0, v[10:11] op_sel_hi:[1,0,1] neg_lo:[0,0,1] neg_hi:[0,0,1]
	v_pk_fma_f32 v[6:7], v[6:7], 2.0, v[8:9] op_sel_hi:[1,0,1] neg_lo:[0,0,1] neg_hi:[0,0,1]
	v_pk_add_f32 v[26:27], v[8:9], v[10:11] op_sel:[0,1] op_sel_hi:[1,0] neg_lo:[0,1] neg_hi:[0,1]
	v_pk_add_f32 v[10:11], v[8:9], v[10:11] op_sel:[0,1] op_sel_hi:[1,0]
	v_pk_add_f32 v[12:13], v[6:7], v[12:13] neg_lo:[0,1] neg_hi:[0,1]
	v_mov_b32_e32 v27, v11
	v_pk_fma_f32 v[6:7], v[6:7], 2.0, v[12:13] op_sel_hi:[1,0,1] neg_lo:[0,0,1] neg_hi:[0,0,1]
	v_pk_fma_f32 v[8:9], v[8:9], 2.0, v[26:27] op_sel_hi:[1,0,1] neg_lo:[0,0,1] neg_hi:[0,0,1]
	ds_write2_b64 v58, v[12:13], v[26:27] offset0:8 offset1:12
	ds_write2_b64 v58, v[6:7], v[8:9] offset1:4
	s_waitcnt lgkmcnt(0)
	; wave barrier
	s_waitcnt lgkmcnt(0)
	global_load_dwordx4 v[6:9], v[30:31], off offset:96
	global_load_dwordx2 v[26:27], v[30:31], off offset:112
	v_and_or_b32 v10, v29, s12, v38
	v_lshlrev_b32_e32 v59, 3, v10
	ds_read2st64_b64 v[10:13], v1 offset1:1
	ds_read2st64_b64 v[34:37], v1 offset0:2 offset1:3
	v_mad_u64_u32 v[38:39], s[10:11], v0, 24, s[10:11]
	s_waitcnt lgkmcnt(0)
	; wave barrier
	s_waitcnt vmcnt(1) lgkmcnt(0)
	v_pk_mul_f32 v[30:31], v[12:13], v[6:7] op_sel:[0,1]
	v_mov_b32_e32 v32, v9
	s_waitcnt vmcnt(0)
	v_pk_mul_f32 v[40:41], v[36:37], v[26:27] op_sel:[0,1]
	v_pk_fma_f32 v[42:43], v[12:13], v[6:7], v[30:31] op_sel:[0,0,1] op_sel_hi:[1,1,0] neg_lo:[0,0,1] neg_hi:[0,0,1]
	v_pk_fma_f32 v[12:13], v[12:13], v[6:7], v[30:31] op_sel:[0,0,1] op_sel_hi:[1,0,0]
	v_pk_mul_f32 v[30:31], v[34:35], v[32:33] op_sel_hi:[1,0]
	v_pk_fma_f32 v[44:45], v[36:37], v[26:27], v[40:41] op_sel:[0,0,1] op_sel_hi:[1,1,0] neg_lo:[0,0,1] neg_hi:[0,0,1]
	v_pk_fma_f32 v[36:37], v[36:37], v[26:27], v[40:41] op_sel:[0,0,1] op_sel_hi:[1,0,0]
	v_mov_b32_e32 v43, v13
	v_pk_fma_f32 v[12:13], v[34:35], v[8:9], v[30:31] op_sel:[0,0,1] op_sel_hi:[1,1,0] neg_lo:[0,0,1] neg_hi:[0,0,1]
	v_pk_fma_f32 v[30:31], v[34:35], v[8:9], v[30:31] op_sel:[0,0,1] op_sel_hi:[1,0,0]
	v_mov_b32_e32 v45, v37
	v_mov_b32_e32 v13, v31
	v_pk_add_f32 v[30:31], v[42:43], v[44:45] neg_lo:[0,1] neg_hi:[0,1]
	v_pk_add_f32 v[12:13], v[10:11], v[12:13] neg_lo:[0,1] neg_hi:[0,1]
	v_pk_fma_f32 v[34:35], v[42:43], 2.0, v[30:31] op_sel_hi:[1,0,1] neg_lo:[0,0,1] neg_hi:[0,0,1]
	v_pk_fma_f32 v[10:11], v[10:11], 2.0, v[12:13] op_sel_hi:[1,0,1] neg_lo:[0,0,1] neg_hi:[0,0,1]
	v_pk_add_f32 v[36:37], v[12:13], v[30:31] op_sel:[0,1] op_sel_hi:[1,0] neg_lo:[0,1] neg_hi:[0,1]
	v_pk_add_f32 v[30:31], v[12:13], v[30:31] op_sel:[0,1] op_sel_hi:[1,0]
	v_pk_add_f32 v[34:35], v[10:11], v[34:35] neg_lo:[0,1] neg_hi:[0,1]
	v_mov_b32_e32 v37, v31
	v_pk_fma_f32 v[10:11], v[10:11], 2.0, v[34:35] op_sel_hi:[1,0,1] neg_lo:[0,0,1] neg_hi:[0,0,1]
	v_pk_fma_f32 v[12:13], v[12:13], 2.0, v[36:37] op_sel_hi:[1,0,1] neg_lo:[0,0,1] neg_hi:[0,0,1]
	ds_write2_b64 v59, v[34:35], v[36:37] offset0:32 offset1:48
	ds_write2_b64 v59, v[10:11], v[12:13] offset1:16
	s_waitcnt lgkmcnt(0)
	; wave barrier
	s_waitcnt lgkmcnt(0)
	global_load_dwordx4 v[10:13], v[38:39], off offset:480
	global_load_dwordx2 v[30:31], v[38:39], off offset:496
	ds_read2st64_b64 v[36:39], v1 offset1:1
	ds_read2st64_b64 v[40:43], v1 offset0:2 offset1:3
	s_waitcnt vmcnt(1) lgkmcnt(1)
	v_pk_mul_f32 v[44:45], v[38:39], v[10:11] op_sel:[0,1]
	v_mov_b32_e32 v34, v13
	s_waitcnt vmcnt(0) lgkmcnt(0)
	v_pk_mul_f32 v[46:47], v[42:43], v[30:31] op_sel:[0,1]
	v_pk_fma_f32 v[48:49], v[38:39], v[10:11], v[44:45] op_sel:[0,0,1] op_sel_hi:[1,1,0] neg_lo:[0,0,1] neg_hi:[0,0,1]
	v_pk_fma_f32 v[38:39], v[38:39], v[10:11], v[44:45] op_sel:[0,0,1] op_sel_hi:[1,0,0]
	v_pk_mul_f32 v[44:45], v[40:41], v[34:35] op_sel_hi:[1,0]
	v_pk_fma_f32 v[50:51], v[42:43], v[30:31], v[46:47] op_sel:[0,0,1] op_sel_hi:[1,1,0] neg_lo:[0,0,1] neg_hi:[0,0,1]
	v_pk_fma_f32 v[42:43], v[42:43], v[30:31], v[46:47] op_sel:[0,0,1] op_sel_hi:[1,0,0]
	v_mov_b32_e32 v49, v39
	v_pk_fma_f32 v[38:39], v[40:41], v[12:13], v[44:45] op_sel:[0,0,1] op_sel_hi:[1,1,0] neg_lo:[0,0,1] neg_hi:[0,0,1]
	v_pk_fma_f32 v[40:41], v[40:41], v[12:13], v[44:45] op_sel:[0,0,1] op_sel_hi:[1,0,0]
	v_mov_b32_e32 v51, v43
	v_mov_b32_e32 v39, v41
	v_pk_add_f32 v[40:41], v[48:49], v[50:51] neg_lo:[0,1] neg_hi:[0,1]
	v_pk_add_f32 v[38:39], v[36:37], v[38:39] neg_lo:[0,1] neg_hi:[0,1]
	v_pk_fma_f32 v[42:43], v[48:49], 2.0, v[40:41] op_sel_hi:[1,0,1] neg_lo:[0,0,1] neg_hi:[0,0,1]
	v_pk_fma_f32 v[36:37], v[36:37], 2.0, v[38:39] op_sel_hi:[1,0,1] neg_lo:[0,0,1] neg_hi:[0,0,1]
	v_pk_add_f32 v[44:45], v[38:39], v[40:41] op_sel:[0,1] op_sel_hi:[1,0] neg_lo:[0,1] neg_hi:[0,1]
	v_pk_add_f32 v[40:41], v[38:39], v[40:41] op_sel:[0,1] op_sel_hi:[1,0]
	v_pk_add_f32 v[42:43], v[36:37], v[42:43] neg_lo:[0,1] neg_hi:[0,1]
	v_mov_b32_e32 v45, v41
	v_pk_fma_f32 v[36:37], v[36:37], 2.0, v[42:43] op_sel_hi:[1,0,1] neg_lo:[0,0,1] neg_hi:[0,0,1]
	v_pk_fma_f32 v[38:39], v[38:39], 2.0, v[44:45] op_sel_hi:[1,0,1] neg_lo:[0,0,1] neg_hi:[0,0,1]
	ds_write2st64_b64 v1, v[42:43], v[44:45] offset0:2 offset1:3
	ds_write2st64_b64 v1, v[36:37], v[38:39] offset1:1
	s_waitcnt lgkmcnt(0)
	; wave barrier
	s_waitcnt lgkmcnt(0)
	global_load_dwordx2 v[44:45], v1, s[8:9] offset:2048
	global_load_dwordx2 v[46:47], v1, s[2:3] offset:512
	;; [unrolled: 1-line block ×4, first 2 shown]
	ds_read2st64_b64 v[36:39], v1 offset1:1
	ds_read2st64_b64 v[40:43], v1 offset0:2 offset1:3
	s_load_dwordx2 s[2:3], s[0:1], 0x38
	s_mov_b32 s0, 0x3b800000
	s_waitcnt lgkmcnt(0)
	v_mov_b32_e32 v52, s2
	v_mov_b32_e32 v53, s3
	s_waitcnt vmcnt(3)
	v_mul_f32_e32 v29, v37, v45
	v_mul_f32_e32 v55, v36, v45
	v_fma_f32 v54, v36, v44, -v29
	s_waitcnt vmcnt(2)
	v_mul_f32_e32 v29, v39, v47
	v_fmac_f32_e32 v55, v37, v44
	v_mul_f32_e32 v37, v38, v47
	v_fma_f32 v36, v38, v46, -v29
	v_fmac_f32_e32 v37, v39, v46
	s_waitcnt vmcnt(1)
	v_mul_f32_e32 v29, v41, v49
	v_mul_f32_e32 v39, v40, v49
	v_fma_f32 v38, v40, v48, -v29
	s_waitcnt vmcnt(0)
	v_mul_f32_e32 v29, v43, v51
	v_fmac_f32_e32 v39, v41, v48
	v_mul_f32_e32 v41, v42, v51
	v_fma_f32 v40, v42, v50, -v29
	v_fmac_f32_e32 v41, v43, v50
	ds_write2st64_b64 v1, v[54:55], v[36:37] offset1:1
	ds_write2st64_b64 v1, v[38:39], v[40:41] offset0:2 offset1:3
	s_waitcnt lgkmcnt(0)
	; wave barrier
	s_waitcnt lgkmcnt(0)
	ds_read2st64_b64 v[36:39], v1 offset1:1
	ds_read2st64_b64 v[40:43], v1 offset0:2 offset1:3
	s_waitcnt lgkmcnt(0)
	; wave barrier
	s_waitcnt lgkmcnt(0)
	v_mad_u64_u32 v[44:45], s[2:3], s6, v22, 0
	v_pk_add_f32 v[54:55], v[36:37], v[40:41] neg_lo:[0,1] neg_hi:[0,1]
	v_pk_add_f32 v[40:41], v[38:39], v[42:43] neg_lo:[0,1] neg_hi:[0,1]
	v_pk_fma_f32 v[42:43], v[36:37], 2.0, v[54:55] op_sel_hi:[1,0,1] neg_lo:[0,0,1] neg_hi:[0,0,1]
	v_pk_fma_f32 v[36:37], v[38:39], 2.0, v[40:41] op_sel_hi:[1,0,1] neg_lo:[0,0,1] neg_hi:[0,0,1]
	v_pk_add_f32 v[38:39], v[54:55], v[40:41] op_sel:[0,1] op_sel_hi:[1,0]
	v_pk_add_f32 v[56:57], v[54:55], v[40:41] op_sel:[0,1] op_sel_hi:[1,0] neg_lo:[0,1] neg_hi:[0,1]
	v_pk_add_f32 v[36:37], v[42:43], v[36:37] neg_lo:[0,1] neg_hi:[0,1]
	v_mov_b32_e32 v39, v57
	v_pk_fma_f32 v[40:41], v[42:43], 2.0, v[36:37] op_sel_hi:[1,0,1] neg_lo:[0,0,1] neg_hi:[0,0,1]
	v_pk_fma_f32 v[42:43], v[54:55], 2.0, v[38:39] op_sel_hi:[1,0,1] neg_lo:[0,0,1] neg_hi:[0,0,1]
	ds_write_b128 v23, v[40:43]
	ds_write_b128 v23, v[36:39] offset:16
	s_waitcnt lgkmcnt(0)
	; wave barrier
	s_waitcnt lgkmcnt(0)
	ds_read2st64_b64 v[36:39], v1 offset1:1
	ds_read2st64_b64 v[40:43], v1 offset0:2 offset1:3
	v_mov_b32_e32 v48, v45
	v_mad_u64_u32 v[48:49], s[6:7], s7, v22, v[48:49]
	s_waitcnt lgkmcnt(1)
	v_pk_mul_f32 v[22:23], v[2:3], v[38:39] op_sel:[1,0]
	s_waitcnt lgkmcnt(0)
	v_pk_mul_f32 v[28:29], v[28:29], v[40:41] op_sel_hi:[0,1]
	v_pk_fma_f32 v[54:55], v[2:3], v[38:39], v[22:23] op_sel:[0,0,1] op_sel_hi:[1,1,0]
	v_pk_fma_f32 v[2:3], v[2:3], v[38:39], v[22:23] op_sel:[0,0,1] op_sel_hi:[0,1,0] neg_lo:[0,0,1] neg_hi:[0,0,1]
	v_pk_fma_f32 v[22:23], v[4:5], v[40:41], v[28:29] op_sel:[0,0,1] op_sel_hi:[1,1,0]
	v_pk_fma_f32 v[4:5], v[4:5], v[40:41], v[28:29] op_sel:[0,0,1] op_sel_hi:[0,1,0] neg_lo:[0,0,1] neg_hi:[0,0,1]
	v_pk_mul_f32 v[28:29], v[24:25], v[42:43] op_sel:[1,0]
	v_mov_b32_e32 v55, v3
	v_pk_fma_f32 v[38:39], v[24:25], v[42:43], v[28:29] op_sel:[0,0,1] op_sel_hi:[1,1,0]
	v_pk_fma_f32 v[24:25], v[24:25], v[42:43], v[28:29] op_sel:[0,0,1] op_sel_hi:[0,1,0] neg_lo:[0,0,1] neg_hi:[0,0,1]
	v_mov_b32_e32 v23, v5
	v_mov_b32_e32 v39, v25
	v_pk_add_f32 v[2:3], v[36:37], v[22:23] neg_lo:[0,1] neg_hi:[0,1]
	v_pk_add_f32 v[4:5], v[54:55], v[38:39] neg_lo:[0,1] neg_hi:[0,1]
	v_pk_fma_f32 v[22:23], v[36:37], 2.0, v[2:3] op_sel_hi:[1,0,1] neg_lo:[0,0,1] neg_hi:[0,0,1]
	v_pk_fma_f32 v[24:25], v[54:55], 2.0, v[4:5] op_sel_hi:[1,0,1] neg_lo:[0,0,1] neg_hi:[0,0,1]
	v_pk_add_f32 v[28:29], v[2:3], v[4:5] op_sel:[0,1] op_sel_hi:[1,0]
	v_pk_add_f32 v[4:5], v[2:3], v[4:5] op_sel:[0,1] op_sel_hi:[1,0] neg_lo:[0,1] neg_hi:[0,1]
	v_pk_add_f32 v[24:25], v[22:23], v[24:25] neg_lo:[0,1] neg_hi:[0,1]
	v_mov_b32_e32 v29, v5
	v_pk_fma_f32 v[4:5], v[22:23], 2.0, v[24:25] op_sel_hi:[1,0,1] neg_lo:[0,0,1] neg_hi:[0,0,1]
	v_pk_fma_f32 v[2:3], v[2:3], 2.0, v[28:29] op_sel_hi:[1,0,1] neg_lo:[0,0,1] neg_hi:[0,0,1]
	s_waitcnt lgkmcnt(0)
	; wave barrier
	ds_write2_b64 v58, v[24:25], v[28:29] offset0:8 offset1:12
	ds_write2_b64 v58, v[4:5], v[2:3] offset1:4
	s_waitcnt lgkmcnt(0)
	; wave barrier
	s_waitcnt lgkmcnt(0)
	ds_read2st64_b64 v[2:5], v1 offset1:1
	ds_read2st64_b64 v[22:25], v1 offset0:2 offset1:3
	s_waitcnt lgkmcnt(0)
	; wave barrier
	s_waitcnt lgkmcnt(0)
	v_mad_u64_u32 v[46:47], s[2:3], s4, v0, 0
	v_pk_mul_f32 v[28:29], v[6:7], v[4:5] op_sel:[1,0]
	v_pk_mul_f32 v[32:33], v[32:33], v[22:23] op_sel_hi:[0,1]
	v_pk_mul_f32 v[36:37], v[26:27], v[24:25] op_sel:[1,0]
	v_pk_fma_f32 v[38:39], v[6:7], v[4:5], v[28:29] op_sel:[0,0,1] op_sel_hi:[1,1,0]
	v_pk_fma_f32 v[4:5], v[6:7], v[4:5], v[28:29] op_sel:[0,0,1] op_sel_hi:[0,1,0] neg_lo:[0,0,1] neg_hi:[0,0,1]
	v_pk_fma_f32 v[6:7], v[8:9], v[22:23], v[32:33] op_sel:[0,0,1] op_sel_hi:[1,1,0]
	v_pk_fma_f32 v[8:9], v[8:9], v[22:23], v[32:33] op_sel:[0,0,1] op_sel_hi:[0,1,0] neg_lo:[0,0,1] neg_hi:[0,0,1]
	;; [unrolled: 2-line block ×3, first 2 shown]
	v_mov_b32_e32 v39, v5
	v_mov_b32_e32 v7, v9
	;; [unrolled: 1-line block ×3, first 2 shown]
	v_pk_add_f32 v[4:5], v[2:3], v[6:7] neg_lo:[0,1] neg_hi:[0,1]
	v_pk_add_f32 v[6:7], v[38:39], v[22:23] neg_lo:[0,1] neg_hi:[0,1]
	v_pk_fma_f32 v[2:3], v[2:3], 2.0, v[4:5] op_sel_hi:[1,0,1] neg_lo:[0,0,1] neg_hi:[0,0,1]
	v_pk_fma_f32 v[8:9], v[38:39], 2.0, v[6:7] op_sel_hi:[1,0,1] neg_lo:[0,0,1] neg_hi:[0,0,1]
	v_pk_add_f32 v[22:23], v[4:5], v[6:7] op_sel:[0,1] op_sel_hi:[1,0]
	v_pk_add_f32 v[6:7], v[4:5], v[6:7] op_sel:[0,1] op_sel_hi:[1,0] neg_lo:[0,1] neg_hi:[0,1]
	v_pk_add_f32 v[8:9], v[2:3], v[8:9] neg_lo:[0,1] neg_hi:[0,1]
	v_mov_b32_e32 v23, v7
	v_pk_fma_f32 v[2:3], v[2:3], 2.0, v[8:9] op_sel_hi:[1,0,1] neg_lo:[0,0,1] neg_hi:[0,0,1]
	v_pk_fma_f32 v[4:5], v[4:5], 2.0, v[22:23] op_sel_hi:[1,0,1] neg_lo:[0,0,1] neg_hi:[0,0,1]
	ds_write2_b64 v59, v[8:9], v[22:23] offset0:32 offset1:48
	ds_write2_b64 v59, v[2:3], v[4:5] offset1:16
	s_waitcnt lgkmcnt(0)
	; wave barrier
	s_waitcnt lgkmcnt(0)
	ds_read2st64_b64 v[2:5], v1 offset1:1
	ds_read2st64_b64 v[6:9], v1 offset0:2 offset1:3
	v_mov_b32_e32 v50, v47
	s_lshl_b64 s[2:3], s[4:5], 9
	v_mad_u64_u32 v[50:51], s[4:5], s5, v0, v[50:51]
	s_waitcnt lgkmcnt(1)
	v_pk_mul_f32 v[24:25], v[10:11], v[4:5] op_sel:[1,0]
	s_waitcnt lgkmcnt(0)
	v_pk_mul_f32 v[26:27], v[34:35], v[6:7] op_sel_hi:[0,1]
	v_pk_mul_f32 v[28:29], v[30:31], v[8:9] op_sel:[1,0]
	v_pk_fma_f32 v[32:33], v[10:11], v[4:5], v[24:25] op_sel:[0,0,1] op_sel_hi:[1,1,0]
	v_pk_fma_f32 v[4:5], v[10:11], v[4:5], v[24:25] op_sel:[0,0,1] op_sel_hi:[0,1,0] neg_lo:[0,0,1] neg_hi:[0,0,1]
	v_pk_fma_f32 v[10:11], v[12:13], v[6:7], v[26:27] op_sel:[0,0,1] op_sel_hi:[1,1,0]
	v_pk_fma_f32 v[6:7], v[12:13], v[6:7], v[26:27] op_sel:[0,0,1] op_sel_hi:[0,1,0] neg_lo:[0,0,1] neg_hi:[0,0,1]
	v_pk_fma_f32 v[12:13], v[30:31], v[8:9], v[28:29] op_sel:[0,0,1] op_sel_hi:[1,1,0]
	v_pk_fma_f32 v[8:9], v[30:31], v[8:9], v[28:29] op_sel:[0,0,1] op_sel_hi:[0,1,0] neg_lo:[0,0,1] neg_hi:[0,0,1]
	v_mov_b32_e32 v33, v5
	v_mov_b32_e32 v11, v7
	;; [unrolled: 1-line block ×3, first 2 shown]
	v_pk_add_f32 v[4:5], v[2:3], v[10:11] neg_lo:[0,1] neg_hi:[0,1]
	v_pk_add_f32 v[6:7], v[32:33], v[12:13] neg_lo:[0,1] neg_hi:[0,1]
	v_pk_fma_f32 v[2:3], v[2:3], 2.0, v[4:5] op_sel_hi:[1,0,1] neg_lo:[0,0,1] neg_hi:[0,0,1]
	v_pk_fma_f32 v[8:9], v[32:33], 2.0, v[6:7] op_sel_hi:[1,0,1] neg_lo:[0,0,1] neg_hi:[0,0,1]
	v_pk_add_f32 v[10:11], v[4:5], v[6:7] op_sel:[0,1] op_sel_hi:[1,0]
	v_pk_add_f32 v[6:7], v[4:5], v[6:7] op_sel:[0,1] op_sel_hi:[1,0] neg_lo:[0,1] neg_hi:[0,1]
	v_pk_add_f32 v[8:9], v[2:3], v[8:9] neg_lo:[0,1] neg_hi:[0,1]
	v_mov_b32_e32 v11, v7
	v_pk_fma_f32 v[2:3], v[2:3], 2.0, v[8:9] op_sel_hi:[1,0,1] neg_lo:[0,0,1] neg_hi:[0,0,1]
	v_pk_fma_f32 v[4:5], v[4:5], 2.0, v[10:11] op_sel_hi:[1,0,1] neg_lo:[0,0,1] neg_hi:[0,0,1]
	ds_write2st64_b64 v1, v[8:9], v[10:11] offset0:2 offset1:3
	ds_write2st64_b64 v1, v[2:3], v[4:5] offset1:1
	s_waitcnt lgkmcnt(0)
	; wave barrier
	s_waitcnt lgkmcnt(0)
	ds_read2st64_b64 v[2:5], v1 offset1:1
	ds_read2st64_b64 v[6:9], v1 offset0:2 offset1:3
	v_mov_b32_e32 v45, v48
	v_mov_b32_e32 v47, v50
	v_lshl_add_u64 v[22:23], v[44:45], 3, v[52:53]
	s_waitcnt lgkmcnt(1)
	v_pk_mul_f32 v[24:25], v[14:15], v[2:3] op_sel:[1,0]
	v_lshl_add_u64 v[22:23], v[46:47], 3, v[22:23]
	v_pk_mul_f32 v[26:27], v[16:17], v[4:5] op_sel:[1,0]
	s_waitcnt lgkmcnt(0)
	v_pk_mul_f32 v[28:29], v[18:19], v[6:7] op_sel:[1,0]
	v_pk_mul_f32 v[30:31], v[20:21], v[8:9] op_sel:[1,0]
	v_pk_fma_f32 v[32:33], v[14:15], v[2:3], v[24:25] op_sel:[0,0,1] op_sel_hi:[1,1,0]
	v_pk_fma_f32 v[2:3], v[14:15], v[2:3], v[24:25] op_sel:[0,0,1] op_sel_hi:[0,1,0] neg_lo:[0,0,1] neg_hi:[0,0,1]
	v_lshl_add_u64 v[10:11], v[22:23], 0, s[2:3]
	v_pk_fma_f32 v[14:15], v[16:17], v[4:5], v[26:27] op_sel:[0,0,1] op_sel_hi:[1,1,0]
	v_pk_fma_f32 v[4:5], v[16:17], v[4:5], v[26:27] op_sel:[0,0,1] op_sel_hi:[0,1,0] neg_lo:[0,0,1] neg_hi:[0,0,1]
	v_pk_fma_f32 v[16:17], v[18:19], v[6:7], v[28:29] op_sel:[0,0,1] op_sel_hi:[1,1,0]
	v_pk_fma_f32 v[6:7], v[18:19], v[6:7], v[28:29] op_sel:[0,0,1] op_sel_hi:[0,1,0] neg_lo:[0,0,1] neg_hi:[0,0,1]
	;; [unrolled: 2-line block ×3, first 2 shown]
	v_mov_b32_e32 v33, v3
	v_lshl_add_u64 v[0:1], v[10:11], 0, s[2:3]
	v_mov_b32_e32 v15, v5
	v_mov_b32_e32 v17, v7
	;; [unrolled: 1-line block ×3, first 2 shown]
	v_pk_mul_f32 v[2:3], v[32:33], s[0:1] op_sel_hi:[1,0]
	v_lshl_add_u64 v[12:13], v[0:1], 0, s[2:3]
	v_pk_mul_f32 v[4:5], v[14:15], s[0:1] op_sel_hi:[1,0]
	v_pk_mul_f32 v[6:7], v[16:17], s[0:1] op_sel_hi:[1,0]
	;; [unrolled: 1-line block ×3, first 2 shown]
	global_store_dwordx2 v[22:23], v[2:3], off
	global_store_dwordx2 v[10:11], v[4:5], off
	;; [unrolled: 1-line block ×4, first 2 shown]
.LBB0_2:
	s_endpgm
	.section	.rodata,"a",@progbits
	.p2align	6, 0x0
	.amdhsa_kernel bluestein_single_back_len256_dim1_sp_op_CI_CI
		.amdhsa_group_segment_fixed_size 2048
		.amdhsa_private_segment_fixed_size 0
		.amdhsa_kernarg_size 104
		.amdhsa_user_sgpr_count 2
		.amdhsa_user_sgpr_dispatch_ptr 0
		.amdhsa_user_sgpr_queue_ptr 0
		.amdhsa_user_sgpr_kernarg_segment_ptr 1
		.amdhsa_user_sgpr_dispatch_id 0
		.amdhsa_user_sgpr_kernarg_preload_length 0
		.amdhsa_user_sgpr_kernarg_preload_offset 0
		.amdhsa_user_sgpr_private_segment_size 0
		.amdhsa_uses_dynamic_stack 0
		.amdhsa_enable_private_segment 0
		.amdhsa_system_sgpr_workgroup_id_x 1
		.amdhsa_system_sgpr_workgroup_id_y 0
		.amdhsa_system_sgpr_workgroup_id_z 0
		.amdhsa_system_sgpr_workgroup_info 0
		.amdhsa_system_vgpr_workitem_id 0
		.amdhsa_next_free_vgpr 60
		.amdhsa_next_free_sgpr 20
		.amdhsa_accum_offset 60
		.amdhsa_reserve_vcc 1
		.amdhsa_float_round_mode_32 0
		.amdhsa_float_round_mode_16_64 0
		.amdhsa_float_denorm_mode_32 3
		.amdhsa_float_denorm_mode_16_64 3
		.amdhsa_dx10_clamp 1
		.amdhsa_ieee_mode 1
		.amdhsa_fp16_overflow 0
		.amdhsa_tg_split 0
		.amdhsa_exception_fp_ieee_invalid_op 0
		.amdhsa_exception_fp_denorm_src 0
		.amdhsa_exception_fp_ieee_div_zero 0
		.amdhsa_exception_fp_ieee_overflow 0
		.amdhsa_exception_fp_ieee_underflow 0
		.amdhsa_exception_fp_ieee_inexact 0
		.amdhsa_exception_int_div_zero 0
	.end_amdhsa_kernel
	.text
.Lfunc_end0:
	.size	bluestein_single_back_len256_dim1_sp_op_CI_CI, .Lfunc_end0-bluestein_single_back_len256_dim1_sp_op_CI_CI
                                        ; -- End function
	.section	.AMDGPU.csdata,"",@progbits
; Kernel info:
; codeLenInByte = 2516
; NumSgprs: 26
; NumVgprs: 60
; NumAgprs: 0
; TotalNumVgprs: 60
; ScratchSize: 0
; MemoryBound: 0
; FloatMode: 240
; IeeeMode: 1
; LDSByteSize: 2048 bytes/workgroup (compile time only)
; SGPRBlocks: 3
; VGPRBlocks: 7
; NumSGPRsForWavesPerEU: 26
; NumVGPRsForWavesPerEU: 60
; AccumOffset: 60
; Occupancy: 8
; WaveLimiterHint : 1
; COMPUTE_PGM_RSRC2:SCRATCH_EN: 0
; COMPUTE_PGM_RSRC2:USER_SGPR: 2
; COMPUTE_PGM_RSRC2:TRAP_HANDLER: 0
; COMPUTE_PGM_RSRC2:TGID_X_EN: 1
; COMPUTE_PGM_RSRC2:TGID_Y_EN: 0
; COMPUTE_PGM_RSRC2:TGID_Z_EN: 0
; COMPUTE_PGM_RSRC2:TIDIG_COMP_CNT: 0
; COMPUTE_PGM_RSRC3_GFX90A:ACCUM_OFFSET: 14
; COMPUTE_PGM_RSRC3_GFX90A:TG_SPLIT: 0
	.text
	.p2alignl 6, 3212836864
	.fill 256, 4, 3212836864
	.type	__hip_cuid_34c3d7ce3ea2efcf,@object ; @__hip_cuid_34c3d7ce3ea2efcf
	.section	.bss,"aw",@nobits
	.globl	__hip_cuid_34c3d7ce3ea2efcf
__hip_cuid_34c3d7ce3ea2efcf:
	.byte	0                               ; 0x0
	.size	__hip_cuid_34c3d7ce3ea2efcf, 1

	.ident	"AMD clang version 19.0.0git (https://github.com/RadeonOpenCompute/llvm-project roc-6.4.0 25133 c7fe45cf4b819c5991fe208aaa96edf142730f1d)"
	.section	".note.GNU-stack","",@progbits
	.addrsig
	.addrsig_sym __hip_cuid_34c3d7ce3ea2efcf
	.amdgpu_metadata
---
amdhsa.kernels:
  - .agpr_count:     0
    .args:
      - .actual_access:  read_only
        .address_space:  global
        .offset:         0
        .size:           8
        .value_kind:     global_buffer
      - .actual_access:  read_only
        .address_space:  global
        .offset:         8
        .size:           8
        .value_kind:     global_buffer
      - .actual_access:  read_only
        .address_space:  global
        .offset:         16
        .size:           8
        .value_kind:     global_buffer
      - .actual_access:  read_only
        .address_space:  global
        .offset:         24
        .size:           8
        .value_kind:     global_buffer
      - .actual_access:  read_only
        .address_space:  global
        .offset:         32
        .size:           8
        .value_kind:     global_buffer
      - .offset:         40
        .size:           8
        .value_kind:     by_value
      - .address_space:  global
        .offset:         48
        .size:           8
        .value_kind:     global_buffer
      - .address_space:  global
        .offset:         56
        .size:           8
        .value_kind:     global_buffer
      - .address_space:  global
        .offset:         64
        .size:           8
        .value_kind:     global_buffer
      - .address_space:  global
        .offset:         72
        .size:           8
        .value_kind:     global_buffer
      - .offset:         80
        .size:           4
        .value_kind:     by_value
      - .address_space:  global
        .offset:         88
        .size:           8
        .value_kind:     global_buffer
      - .address_space:  global
        .offset:         96
        .size:           8
        .value_kind:     global_buffer
    .group_segment_fixed_size: 2048
    .kernarg_segment_align: 8
    .kernarg_segment_size: 104
    .language:       OpenCL C
    .language_version:
      - 2
      - 0
    .max_flat_workgroup_size: 64
    .name:           bluestein_single_back_len256_dim1_sp_op_CI_CI
    .private_segment_fixed_size: 0
    .sgpr_count:     26
    .sgpr_spill_count: 0
    .symbol:         bluestein_single_back_len256_dim1_sp_op_CI_CI.kd
    .uniform_work_group_size: 1
    .uses_dynamic_stack: false
    .vgpr_count:     60
    .vgpr_spill_count: 0
    .wavefront_size: 64
amdhsa.target:   amdgcn-amd-amdhsa--gfx950
amdhsa.version:
  - 1
  - 2
...

	.end_amdgpu_metadata
